;; amdgpu-corpus repo=ROCm/rocFFT kind=compiled arch=gfx1030 opt=O3
	.text
	.amdgcn_target "amdgcn-amd-amdhsa--gfx1030"
	.amdhsa_code_object_version 6
	.protected	fft_rtc_fwd_len850_factors_10_5_17_wgs_85_tpt_85_half_op_CI_CI_sbrr_dirReg ; -- Begin function fft_rtc_fwd_len850_factors_10_5_17_wgs_85_tpt_85_half_op_CI_CI_sbrr_dirReg
	.globl	fft_rtc_fwd_len850_factors_10_5_17_wgs_85_tpt_85_half_op_CI_CI_sbrr_dirReg
	.p2align	8
	.type	fft_rtc_fwd_len850_factors_10_5_17_wgs_85_tpt_85_half_op_CI_CI_sbrr_dirReg,@function
fft_rtc_fwd_len850_factors_10_5_17_wgs_85_tpt_85_half_op_CI_CI_sbrr_dirReg: ; @fft_rtc_fwd_len850_factors_10_5_17_wgs_85_tpt_85_half_op_CI_CI_sbrr_dirReg
; %bb.0:
	s_clause 0x2
	s_load_dwordx4 s[16:19], s[4:5], 0x18
	s_load_dwordx4 s[12:15], s[4:5], 0x0
	;; [unrolled: 1-line block ×3, first 2 shown]
	s_mov_b64 s[38:39], s[2:3]
	s_mov_b64 s[36:37], s[0:1]
	v_mul_u32_u24_e32 v1, 0x304, v0
	v_mov_b32_e32 v7, 0
	v_mov_b32_e32 v5, 0
	v_mov_b32_e32 v6, 0
	s_add_u32 s36, s36, s7
	v_add_nc_u32_sdwa v9, s6, v1 dst_sel:DWORD dst_unused:UNUSED_PAD src0_sel:DWORD src1_sel:WORD_1
	v_mov_b32_e32 v10, v7
	s_addc_u32 s37, s37, 0
	s_waitcnt lgkmcnt(0)
	s_load_dwordx2 s[20:21], s[16:17], 0x0
	s_load_dwordx2 s[2:3], s[18:19], 0x0
	v_cmp_lt_u64_e64 s0, s[14:15], 2
	s_and_b32 vcc_lo, exec_lo, s0
	s_cbranch_vccnz .LBB0_8
; %bb.1:
	s_load_dwordx2 s[0:1], s[4:5], 0x10
	v_mov_b32_e32 v5, 0
	v_mov_b32_e32 v6, 0
	s_add_u32 s6, s18, 8
	s_addc_u32 s7, s19, 0
	v_mov_b32_e32 v1, v5
	s_add_u32 s22, s16, 8
	v_mov_b32_e32 v2, v6
	s_addc_u32 s23, s17, 0
	s_mov_b64 s[26:27], 1
	s_waitcnt lgkmcnt(0)
	s_add_u32 s24, s0, 8
	s_addc_u32 s25, s1, 0
.LBB0_2:                                ; =>This Inner Loop Header: Depth=1
	s_load_dwordx2 s[28:29], s[24:25], 0x0
                                        ; implicit-def: $vgpr3_vgpr4
	s_mov_b32 s0, exec_lo
	s_waitcnt lgkmcnt(0)
	v_or_b32_e32 v8, s29, v10
	v_cmpx_ne_u64_e32 0, v[7:8]
	s_xor_b32 s1, exec_lo, s0
	s_cbranch_execz .LBB0_4
; %bb.3:                                ;   in Loop: Header=BB0_2 Depth=1
	v_cvt_f32_u32_e32 v3, s28
	v_cvt_f32_u32_e32 v4, s29
	s_sub_u32 s0, 0, s28
	s_subb_u32 s30, 0, s29
	v_fmac_f32_e32 v3, 0x4f800000, v4
	v_rcp_f32_e32 v3, v3
	v_mul_f32_e32 v3, 0x5f7ffffc, v3
	v_mul_f32_e32 v4, 0x2f800000, v3
	v_trunc_f32_e32 v4, v4
	v_fmac_f32_e32 v3, 0xcf800000, v4
	v_cvt_u32_f32_e32 v4, v4
	v_cvt_u32_f32_e32 v3, v3
	v_mul_lo_u32 v8, s0, v4
	v_mul_hi_u32 v11, s0, v3
	v_mul_lo_u32 v12, s30, v3
	v_add_nc_u32_e32 v8, v11, v8
	v_mul_lo_u32 v11, s0, v3
	v_add_nc_u32_e32 v8, v8, v12
	v_mul_hi_u32 v12, v3, v11
	v_mul_lo_u32 v13, v3, v8
	v_mul_hi_u32 v14, v3, v8
	v_mul_hi_u32 v15, v4, v11
	v_mul_lo_u32 v11, v4, v11
	v_mul_hi_u32 v16, v4, v8
	v_mul_lo_u32 v8, v4, v8
	v_add_co_u32 v12, vcc_lo, v12, v13
	v_add_co_ci_u32_e32 v13, vcc_lo, 0, v14, vcc_lo
	v_add_co_u32 v11, vcc_lo, v12, v11
	v_add_co_ci_u32_e32 v11, vcc_lo, v13, v15, vcc_lo
	v_add_co_ci_u32_e32 v12, vcc_lo, 0, v16, vcc_lo
	v_add_co_u32 v8, vcc_lo, v11, v8
	v_add_co_ci_u32_e32 v11, vcc_lo, 0, v12, vcc_lo
	v_add_co_u32 v3, vcc_lo, v3, v8
	v_add_co_ci_u32_e32 v4, vcc_lo, v4, v11, vcc_lo
	v_mul_hi_u32 v8, s0, v3
	v_mul_lo_u32 v12, s30, v3
	v_mul_lo_u32 v11, s0, v4
	v_add_nc_u32_e32 v8, v8, v11
	v_mul_lo_u32 v11, s0, v3
	v_add_nc_u32_e32 v8, v8, v12
	v_mul_hi_u32 v12, v3, v11
	v_mul_lo_u32 v13, v3, v8
	v_mul_hi_u32 v14, v3, v8
	v_mul_hi_u32 v15, v4, v11
	v_mul_lo_u32 v11, v4, v11
	v_mul_hi_u32 v16, v4, v8
	v_mul_lo_u32 v8, v4, v8
	v_add_co_u32 v12, vcc_lo, v12, v13
	v_add_co_ci_u32_e32 v13, vcc_lo, 0, v14, vcc_lo
	v_add_co_u32 v11, vcc_lo, v12, v11
	v_add_co_ci_u32_e32 v11, vcc_lo, v13, v15, vcc_lo
	v_add_co_ci_u32_e32 v12, vcc_lo, 0, v16, vcc_lo
	v_add_co_u32 v8, vcc_lo, v11, v8
	v_add_co_ci_u32_e32 v11, vcc_lo, 0, v12, vcc_lo
	v_add_co_u32 v8, vcc_lo, v3, v8
	v_add_co_ci_u32_e32 v13, vcc_lo, v4, v11, vcc_lo
	v_mul_hi_u32 v15, v9, v8
	v_mad_u64_u32 v[11:12], null, v10, v8, 0
	v_mad_u64_u32 v[3:4], null, v9, v13, 0
	;; [unrolled: 1-line block ×3, first 2 shown]
	v_add_co_u32 v3, vcc_lo, v15, v3
	v_add_co_ci_u32_e32 v4, vcc_lo, 0, v4, vcc_lo
	v_add_co_u32 v3, vcc_lo, v3, v11
	v_add_co_ci_u32_e32 v3, vcc_lo, v4, v12, vcc_lo
	v_add_co_ci_u32_e32 v4, vcc_lo, 0, v14, vcc_lo
	v_add_co_u32 v8, vcc_lo, v3, v13
	v_add_co_ci_u32_e32 v11, vcc_lo, 0, v4, vcc_lo
	v_mul_lo_u32 v12, s29, v8
	v_mad_u64_u32 v[3:4], null, s28, v8, 0
	v_mul_lo_u32 v13, s28, v11
	v_sub_co_u32 v3, vcc_lo, v9, v3
	v_add3_u32 v4, v4, v13, v12
	v_sub_nc_u32_e32 v12, v10, v4
	v_subrev_co_ci_u32_e64 v12, s0, s29, v12, vcc_lo
	v_add_co_u32 v13, s0, v8, 2
	v_add_co_ci_u32_e64 v14, s0, 0, v11, s0
	v_sub_co_u32 v15, s0, v3, s28
	v_sub_co_ci_u32_e32 v4, vcc_lo, v10, v4, vcc_lo
	v_subrev_co_ci_u32_e64 v12, s0, 0, v12, s0
	v_cmp_le_u32_e32 vcc_lo, s28, v15
	v_cmp_eq_u32_e64 s0, s29, v4
	v_cndmask_b32_e64 v15, 0, -1, vcc_lo
	v_cmp_le_u32_e32 vcc_lo, s29, v12
	v_cndmask_b32_e64 v16, 0, -1, vcc_lo
	v_cmp_le_u32_e32 vcc_lo, s28, v3
	;; [unrolled: 2-line block ×3, first 2 shown]
	v_cndmask_b32_e64 v17, 0, -1, vcc_lo
	v_cmp_eq_u32_e32 vcc_lo, s29, v12
	v_cndmask_b32_e64 v3, v17, v3, s0
	v_cndmask_b32_e32 v12, v16, v15, vcc_lo
	v_add_co_u32 v15, vcc_lo, v8, 1
	v_add_co_ci_u32_e32 v16, vcc_lo, 0, v11, vcc_lo
	v_cmp_ne_u32_e32 vcc_lo, 0, v12
	v_cndmask_b32_e32 v4, v16, v14, vcc_lo
	v_cndmask_b32_e32 v12, v15, v13, vcc_lo
	v_cmp_ne_u32_e32 vcc_lo, 0, v3
	v_cndmask_b32_e32 v4, v11, v4, vcc_lo
	v_cndmask_b32_e32 v3, v8, v12, vcc_lo
.LBB0_4:                                ;   in Loop: Header=BB0_2 Depth=1
	s_andn2_saveexec_b32 s0, s1
	s_cbranch_execz .LBB0_6
; %bb.5:                                ;   in Loop: Header=BB0_2 Depth=1
	v_cvt_f32_u32_e32 v3, s28
	s_sub_i32 s1, 0, s28
	v_rcp_iflag_f32_e32 v3, v3
	v_mul_f32_e32 v3, 0x4f7ffffe, v3
	v_cvt_u32_f32_e32 v3, v3
	v_mul_lo_u32 v4, s1, v3
	v_mul_hi_u32 v4, v3, v4
	v_add_nc_u32_e32 v3, v3, v4
	v_mul_hi_u32 v3, v9, v3
	v_mul_lo_u32 v4, v3, s28
	v_add_nc_u32_e32 v8, 1, v3
	v_sub_nc_u32_e32 v4, v9, v4
	v_subrev_nc_u32_e32 v11, s28, v4
	v_cmp_le_u32_e32 vcc_lo, s28, v4
	v_cndmask_b32_e32 v4, v4, v11, vcc_lo
	v_cndmask_b32_e32 v3, v3, v8, vcc_lo
	v_cmp_le_u32_e32 vcc_lo, s28, v4
	v_add_nc_u32_e32 v8, 1, v3
	v_mov_b32_e32 v4, v7
	v_cndmask_b32_e32 v3, v3, v8, vcc_lo
.LBB0_6:                                ;   in Loop: Header=BB0_2 Depth=1
	s_or_b32 exec_lo, exec_lo, s0
	v_mul_lo_u32 v8, v4, s28
	v_mul_lo_u32 v13, v3, s29
	s_load_dwordx2 s[0:1], s[22:23], 0x0
	v_mad_u64_u32 v[11:12], null, v3, s28, 0
	s_load_dwordx2 s[28:29], s[6:7], 0x0
	s_add_u32 s26, s26, 1
	s_addc_u32 s27, s27, 0
	s_add_u32 s6, s6, 8
	s_addc_u32 s7, s7, 0
	s_add_u32 s22, s22, 8
	v_add3_u32 v8, v12, v13, v8
	v_sub_co_u32 v9, vcc_lo, v9, v11
	s_addc_u32 s23, s23, 0
	s_add_u32 s24, s24, 8
	v_sub_co_ci_u32_e32 v8, vcc_lo, v10, v8, vcc_lo
	s_addc_u32 s25, s25, 0
	s_waitcnt lgkmcnt(0)
	v_mul_lo_u32 v10, s0, v8
	v_mul_lo_u32 v11, s1, v9
	v_mad_u64_u32 v[5:6], null, s0, v9, v[5:6]
	v_mul_lo_u32 v8, s28, v8
	v_mul_lo_u32 v12, s29, v9
	v_mad_u64_u32 v[1:2], null, s28, v9, v[1:2]
	v_cmp_ge_u64_e64 s0, s[26:27], s[14:15]
	v_add3_u32 v6, v11, v6, v10
	v_add3_u32 v2, v12, v2, v8
	s_and_b32 vcc_lo, exec_lo, s0
	s_cbranch_vccnz .LBB0_9
; %bb.7:                                ;   in Loop: Header=BB0_2 Depth=1
	v_mov_b32_e32 v10, v4
	v_mov_b32_e32 v9, v3
	s_branch .LBB0_2
.LBB0_8:
	v_mov_b32_e32 v1, v5
	v_mov_b32_e32 v3, v9
	;; [unrolled: 1-line block ×4, first 2 shown]
.LBB0_9:
	s_load_dwordx2 s[0:1], s[4:5], 0x28
	v_mul_hi_u32 v18, 0x3030304, v0
	s_lshl_b64 s[6:7], s[14:15], 3
                                        ; implicit-def: $vgpr22
                                        ; implicit-def: $vgpr7
	s_add_u32 s4, s18, s6
	s_addc_u32 s5, s19, s7
	s_waitcnt lgkmcnt(0)
	v_cmp_gt_u64_e32 vcc_lo, s[0:1], v[3:4]
	v_cmp_le_u64_e64 s0, s[0:1], v[3:4]
	s_and_saveexec_b32 s1, s0
	s_xor_b32 s0, exec_lo, s1
; %bb.10:
	v_mul_u32_u24_e32 v5, 0x55, v18
                                        ; implicit-def: $vgpr18
	v_sub_nc_u32_e32 v22, v0, v5
                                        ; implicit-def: $vgpr0
                                        ; implicit-def: $vgpr5_vgpr6
	v_add_nc_u32_e32 v7, 0x55, v22
; %bb.11:
	s_or_saveexec_b32 s1, s0
                                        ; implicit-def: $vgpr17
                                        ; implicit-def: $vgpr16
                                        ; implicit-def: $vgpr11
                                        ; implicit-def: $vgpr9
                                        ; implicit-def: $vgpr8
                                        ; implicit-def: $vgpr15
                                        ; implicit-def: $vgpr14
                                        ; implicit-def: $vgpr13
                                        ; implicit-def: $vgpr12
                                        ; implicit-def: $vgpr10
	s_xor_b32 exec_lo, exec_lo, s1
	s_cbranch_execz .LBB0_13
; %bb.12:
	s_add_u32 s6, s16, s6
	s_addc_u32 s7, s17, s7
	v_mul_u32_u24_e32 v7, 0x55, v18
	s_load_dwordx2 s[6:7], s[6:7], 0x0
	v_lshlrev_b64 v[5:6], 2, v[5:6]
	v_sub_nc_u32_e32 v22, v0, v7
	v_mad_u64_u32 v[8:9], null, s20, v22, 0
	v_add_nc_u32_e32 v7, 0x55, v22
	v_add_nc_u32_e32 v23, 0xaa, v22
	;; [unrolled: 1-line block ×5, first 2 shown]
	v_mad_u64_u32 v[10:11], null, s20, v7, 0
	v_mov_b32_e32 v0, v9
	v_mad_u64_u32 v[12:13], null, s20, v23, 0
	s_waitcnt lgkmcnt(0)
	v_mul_lo_u32 v9, s7, v3
	v_mul_lo_u32 v19, s6, v4
	v_mad_u64_u32 v[14:15], null, s6, v3, 0
	v_mad_u64_u32 v[16:17], null, s21, v22, v[0:1]
	v_mov_b32_e32 v0, v11
	v_mad_u64_u32 v[17:18], null, s20, v24, 0
	v_mov_b32_e32 v11, v13
	v_add3_u32 v15, v15, v19, v9
	v_mad_u64_u32 v[19:20], null, s21, v7, v[0:1]
	v_mad_u64_u32 v[20:21], null, s20, v25, 0
	v_lshlrev_b64 v[13:14], 2, v[14:15]
	v_mov_b32_e32 v9, v16
	v_mad_u64_u32 v[15:16], null, s21, v23, v[11:12]
	v_mov_b32_e32 v0, v18
	v_mov_b32_e32 v11, v19
	v_add_co_u32 v16, s0, s8, v13
	v_add_co_ci_u32_e64 v14, s0, s9, v14, s0
	v_lshlrev_b64 v[8:9], 2, v[8:9]
	v_add_co_u32 v34, s0, v16, v5
	v_mov_b32_e32 v13, v15
	v_add_co_ci_u32_e64 v35, s0, v14, v6, s0
	v_lshlrev_b64 v[5:6], 2, v[10:11]
	v_mad_u64_u32 v[10:11], null, s21, v24, v[0:1]
	v_mov_b32_e32 v0, v21
	v_add_nc_u32_e32 v19, 0x1a9, v22
	v_lshlrev_b64 v[11:12], 2, v[12:13]
	v_add_co_u32 v8, s0, v34, v8
	v_mad_u64_u32 v[13:14], null, s21, v25, v[0:1]
	v_mad_u64_u32 v[14:15], null, s20, v19, 0
	v_add_co_ci_u32_e64 v9, s0, v35, v9, s0
	v_add_co_u32 v5, s0, v34, v5
	v_mov_b32_e32 v18, v10
	v_add_co_ci_u32_e64 v6, s0, v35, v6, s0
	v_add_co_u32 v10, s0, v34, v11
	v_add_co_ci_u32_e64 v11, s0, v35, v12, s0
	v_mov_b32_e32 v21, v13
	v_mov_b32_e32 v0, v15
	v_add_nc_u32_e32 v28, 0x253, v22
	v_mad_u64_u32 v[12:13], null, s20, v27, 0
	v_lshlrev_b64 v[16:17], 2, v[17:18]
	v_mad_u64_u32 v[18:19], null, s21, v19, v[0:1]
	v_mad_u64_u32 v[23:24], null, s20, v28, 0
	v_add_nc_u32_e32 v36, 0x2fd, v22
	v_add_co_u32 v25, s0, v34, v16
	v_mov_b32_e32 v0, v13
	v_add_co_ci_u32_e64 v26, s0, v35, v17, s0
	v_lshlrev_b64 v[16:17], 2, v[20:21]
	v_add_nc_u32_e32 v21, 0x2a8, v22
	v_mov_b32_e32 v15, v18
	v_mad_u64_u32 v[18:19], null, s21, v27, v[0:1]
	v_mov_b32_e32 v0, v24
	v_mad_u64_u32 v[19:20], null, s20, v21, 0
	v_lshlrev_b64 v[14:15], 2, v[14:15]
	v_add_co_u32 v30, s0, v34, v16
	v_mad_u64_u32 v[27:28], null, s21, v28, v[0:1]
	v_mad_u64_u32 v[28:29], null, s20, v36, 0
	v_mov_b32_e32 v0, v20
	v_add_co_ci_u32_e64 v31, s0, v35, v17, s0
	v_mov_b32_e32 v13, v18
	v_add_co_u32 v32, s0, v34, v14
	v_mad_u64_u32 v[16:17], null, s21, v21, v[0:1]
	v_mov_b32_e32 v0, v29
	v_add_co_ci_u32_e64 v33, s0, v35, v15, s0
	v_mov_b32_e32 v24, v27
	v_lshlrev_b64 v[12:13], 2, v[12:13]
	v_mad_u64_u32 v[14:15], null, s21, v36, v[0:1]
	v_mov_b32_e32 v20, v16
	v_lshlrev_b64 v[17:18], 2, v[23:24]
	v_add_co_u32 v23, s0, v34, v12
	v_add_co_ci_u32_e64 v24, s0, v35, v13, s0
	v_mov_b32_e32 v29, v14
	v_lshlrev_b64 v[12:13], 2, v[19:20]
	v_add_co_u32 v19, s0, v34, v17
	v_add_co_ci_u32_e64 v20, s0, v35, v18, s0
	v_lshlrev_b64 v[14:15], 2, v[28:29]
	v_add_co_u32 v27, s0, v34, v12
	v_add_co_ci_u32_e64 v28, s0, v35, v13, s0
	v_add_co_u32 v34, s0, v34, v14
	v_add_co_ci_u32_e64 v35, s0, v35, v15, s0
	s_clause 0x9
	global_load_dword v17, v[8:9], off
	global_load_dword v15, v[5:6], off
	;; [unrolled: 1-line block ×10, first 2 shown]
.LBB0_13:
	s_or_b32 exec_lo, exec_lo, s1
	s_waitcnt vmcnt(3)
	v_add_f16_e32 v0, v11, v9
	s_waitcnt vmcnt(1)
	v_sub_f16_sdwa v6, v16, v8 dst_sel:DWORD dst_unused:UNUSED_PAD src0_sel:WORD_1 src1_sel:WORD_1
	v_add_f16_e32 v18, v16, v8
	v_sub_f16_sdwa v19, v11, v9 dst_sel:DWORD dst_unused:UNUSED_PAD src0_sel:WORD_1 src1_sel:WORD_1
	v_sub_f16_e32 v20, v8, v9
	v_fma_f16 v0, -0.5, v0, v17
	v_sub_f16_e32 v21, v16, v11
	v_fma_f16 v18, -0.5, v18, v17
	v_pk_add_f16 v5, v17, v16
	v_sub_f16_e32 v24, v9, v8
	v_fmamk_f16 v23, v6, 0x3b9c, v0
	v_fmac_f16_e32 v0, 0xbb9c, v6
	v_sub_f16_e32 v25, v11, v16
	v_add_f16_sdwa v27, v11, v9 dst_sel:DWORD dst_unused:UNUSED_PAD src0_sel:WORD_1 src1_sel:WORD_1
	v_lshrrev_b32_e32 v17, 16, v17
	v_fmamk_f16 v26, v19, 0xbb9c, v18
	v_fmac_f16_e32 v23, 0x38b4, v19
	v_add_f16_e32 v20, v21, v20
	v_fmac_f16_e32 v0, 0xb8b4, v19
	v_fmac_f16_e32 v18, 0x3b9c, v19
	v_add_f16_sdwa v28, v16, v8 dst_sel:DWORD dst_unused:UNUSED_PAD src0_sel:WORD_1 src1_sel:WORD_1
	v_add_f16_e32 v21, v25, v24
	v_fma_f16 v24, -0.5, v27, v17
	v_sub_f16_e32 v25, v16, v8
	v_fmac_f16_e32 v26, 0x38b4, v6
	v_fmac_f16_e32 v23, 0x34f2, v20
	v_fmac_f16_e32 v0, 0x34f2, v20
	v_sub_f16_e32 v20, v11, v9
	v_fmac_f16_e32 v18, 0xb8b4, v6
	v_fmac_f16_e32 v17, -0.5, v28
	v_fmamk_f16 v19, v25, 0xbb9c, v24
	v_sub_f16_sdwa v27, v16, v11 dst_sel:DWORD dst_unused:UNUSED_PAD src0_sel:WORD_1 src1_sel:WORD_1
	v_sub_f16_sdwa v29, v8, v9 dst_sel:DWORD dst_unused:UNUSED_PAD src0_sel:WORD_1 src1_sel:WORD_1
	v_fmac_f16_e32 v24, 0x3b9c, v25
	v_fmac_f16_e32 v26, 0x34f2, v21
	;; [unrolled: 1-line block ×3, first 2 shown]
	v_fmamk_f16 v21, v20, 0x3b9c, v17
	v_sub_f16_sdwa v16, v11, v16 dst_sel:DWORD dst_unused:UNUSED_PAD src0_sel:WORD_1 src1_sel:WORD_1
	v_sub_f16_sdwa v28, v9, v8 dst_sel:DWORD dst_unused:UNUSED_PAD src0_sel:WORD_1 src1_sel:WORD_1
	v_fmac_f16_e32 v17, 0xbb9c, v20
	v_fmac_f16_e32 v19, 0xb8b4, v20
	v_add_f16_e32 v6, v27, v29
	v_fmac_f16_e32 v24, 0x38b4, v20
	v_add_f16_e32 v27, v13, v12
	v_fmac_f16_e32 v21, 0xb8b4, v25
	s_waitcnt vmcnt(0)
	v_sub_f16_e32 v30, v10, v12
	v_sub_f16_e32 v31, v14, v13
	v_add_f16_e32 v16, v16, v28
	v_fmac_f16_e32 v17, 0x38b4, v25
	v_add_f16_e32 v25, v14, v10
	v_fmac_f16_e32 v19, 0x34f2, v6
	v_fmac_f16_e32 v24, 0x34f2, v6
	v_fma_f16 v6, -0.5, v27, v15
	v_sub_f16_sdwa v27, v14, v10 dst_sel:DWORD dst_unused:UNUSED_PAD src0_sel:WORD_1 src1_sel:WORD_1
	v_add_f16_e32 v28, v31, v30
	v_fmac_f16_e32 v21, 0x34f2, v16
	v_fmac_f16_e32 v17, 0x34f2, v16
	v_pk_add_f16 v16, v15, v14
	v_fma_f16 v25, -0.5, v25, v15
	v_add_f16_sdwa v30, v13, v12 dst_sel:DWORD dst_unused:UNUSED_PAD src0_sel:WORD_1 src1_sel:WORD_1
	v_lshrrev_b32_e32 v15, 16, v15
	v_fmamk_f16 v20, v27, 0x3b9c, v6
	v_sub_f16_sdwa v29, v13, v12 dst_sel:DWORD dst_unused:UNUSED_PAD src0_sel:WORD_1 src1_sel:WORD_1
	v_fmac_f16_e32 v6, 0xbb9c, v27
	v_sub_f16_e32 v32, v12, v10
	v_sub_f16_e32 v33, v13, v14
	v_fma_f16 v30, -0.5, v30, v15
	v_sub_f16_e32 v34, v14, v10
	v_fmac_f16_e32 v20, 0x38b4, v29
	v_fmamk_f16 v31, v29, 0xbb9c, v25
	v_fmac_f16_e32 v6, 0xb8b4, v29
	v_fmac_f16_e32 v25, 0x3b9c, v29
	v_add_f16_sdwa v29, v14, v10 dst_sel:DWORD dst_unused:UNUSED_PAD src0_sel:WORD_1 src1_sel:WORD_1
	v_add_f16_e32 v32, v33, v32
	v_fmamk_f16 v33, v34, 0xbb9c, v30
	v_sub_f16_e32 v35, v13, v12
	v_sub_f16_sdwa v36, v14, v13 dst_sel:DWORD dst_unused:UNUSED_PAD src0_sel:WORD_1 src1_sel:WORD_1
	v_sub_f16_sdwa v37, v10, v12 dst_sel:DWORD dst_unused:UNUSED_PAD src0_sel:WORD_1 src1_sel:WORD_1
	v_fmac_f16_e32 v15, -0.5, v29
	v_fmac_f16_e32 v31, 0x38b4, v27
	v_fmac_f16_e32 v25, 0xb8b4, v27
	;; [unrolled: 1-line block ×3, first 2 shown]
	v_add_f16_e32 v27, v36, v37
	v_fmamk_f16 v29, v35, 0x3b9c, v15
	v_sub_f16_sdwa v14, v13, v14 dst_sel:DWORD dst_unused:UNUSED_PAD src0_sel:WORD_1 src1_sel:WORD_1
	v_sub_f16_sdwa v36, v12, v10 dst_sel:DWORD dst_unused:UNUSED_PAD src0_sel:WORD_1 src1_sel:WORD_1
	v_fmac_f16_e32 v15, 0xbb9c, v35
	v_fmac_f16_e32 v33, 0x34f2, v27
	;; [unrolled: 1-line block ×4, first 2 shown]
	v_add_f16_e32 v14, v14, v36
	v_fmac_f16_e32 v15, 0x38b4, v34
	v_fmac_f16_e32 v20, 0x34f2, v28
	;; [unrolled: 1-line block ×4, first 2 shown]
	v_mul_f16_e32 v32, 0x38b4, v33
	v_fmac_f16_e32 v30, 0x38b4, v35
	v_fmac_f16_e32 v15, 0x34f2, v14
	v_mul_f16_e32 v34, 0x34f2, v25
	v_fmac_f16_e32 v6, 0x34f2, v28
	v_fmac_f16_e32 v29, 0x34f2, v14
	v_mul_f16_e32 v14, 0x34f2, v31
	v_fmac_f16_e32 v32, 0x3a79, v20
	v_mul_f16_e32 v20, 0xb8b4, v20
	v_pk_add_f16 v5, v5, v11
	v_pk_add_f16 v11, v16, v13
	v_fmac_f16_e32 v30, 0x34f2, v27
	v_fma_f16 v27, v15, 0x3b9c, -v34
	v_mul_f16_e32 v34, 0x3a79, v6
	v_mul_f16_e32 v31, 0xbb9c, v31
	;; [unrolled: 1-line block ×3, first 2 shown]
	v_fmac_f16_e32 v14, 0x3b9c, v29
	v_fmac_f16_e32 v20, 0x3a79, v33
	v_pk_add_f16 v5, v5, v9
	v_pk_add_f16 v9, v11, v12
	v_fma_f16 v34, v30, 0x38b4, -v34
	v_mul_f16_e32 v30, 0x3a79, v30
	v_fmac_f16_e32 v31, 0x34f2, v29
	v_fma_f16 v25, v25, 0xbb9c, -v15
	v_add_f16_e32 v28, v23, v32
	v_add_f16_e32 v35, v26, v14
	;; [unrolled: 1-line block ×3, first 2 shown]
	v_sub_f16_e32 v11, v26, v14
	v_mul_u32_u24_e32 v14, 10, v22
	v_pk_add_f16 v5, v5, v8
	v_pk_add_f16 v8, v9, v10
	v_add_f16_e32 v36, v18, v27
	v_fma_f16 v6, v6, 0xb8b4, -v30
	v_add_f16_e32 v30, v21, v31
	v_add_f16_e32 v13, v17, v25
	v_sub_f16_e32 v12, v18, v27
	v_sub_f16_e32 v9, v19, v20
	v_lshl_add_u32 v15, v14, 2, 0
	v_pk_add_f16 v14, v5, v8
	v_and_b32_e32 v18, 0xff, v22
	v_pack_b32_f16 v19, v28, v33
	v_pack_b32_f16 v20, v35, v30
	;; [unrolled: 1-line block ×3, first 2 shown]
	s_load_dwordx2 s[4:5], s[4:5], 0x0
	v_sub_f16_e32 v10, v21, v31
	v_mul_lo_u16 v18, 0xcd, v18
	ds_write2_b32 v15, v14, v19 offset1:1
	ds_write2_b32 v15, v20, v13 offset0:2 offset1:3
	v_and_b32_e32 v13, 0xff, v7
	v_add_f16_e32 v29, v0, v34
	v_add_f16_e32 v16, v24, v6
	v_sub_f16_e32 v17, v17, v25
	v_lshrrev_b16 v25, 11, v18
	v_pack_b32_f16 v10, v11, v10
	v_mul_lo_u16 v11, 0xcd, v13
	v_sub_f16_e32 v23, v23, v32
	v_sub_f16_e32 v0, v0, v34
	;; [unrolled: 1-line block ×3, first 2 shown]
	v_pk_add_f16 v5, v5, v8 neg_lo:[0,1] neg_hi:[0,1]
	v_pack_b32_f16 v8, v29, v16
	v_mul_lo_u16 v13, v25, 10
	v_lshrrev_b16 v26, 11, v11
	v_pack_b32_f16 v9, v23, v9
	v_pack_b32_f16 v0, v0, v6
	;; [unrolled: 1-line block ×3, first 2 shown]
	v_sub_nc_u16 v27, v22, v13
	v_mov_b32_e32 v16, 4
	ds_write2_b32 v15, v8, v5 offset0:4 offset1:5
	ds_write2_b32 v15, v9, v10 offset0:6 offset1:7
	v_mul_lo_u16 v5, v26, 10
	ds_write2_b32 v15, v6, v0 offset0:8 offset1:9
	s_waitcnt lgkmcnt(0)
	v_lshlrev_b32_sdwa v0, v16, v27 dst_sel:DWORD dst_unused:UNUSED_PAD src0_sel:DWORD src1_sel:BYTE_0
	s_barrier
	v_sub_nc_u16 v8, v7, v5
	buffer_gl0_inv
	v_lshl_add_u32 v5, v7, 2, 0
	global_load_dwordx4 v[11:14], v0, s[12:13]
	v_mov_b32_e32 v28, 0xc8
	v_lshlrev_b32_sdwa v0, v16, v8 dst_sel:DWORD dst_unused:UNUSED_PAD src0_sel:DWORD src1_sel:BYTE_0
	v_mov_b32_e32 v29, 2
	v_cmp_gt_u32_e64 s0, 50, v22
	v_mul_u32_u24_sdwa v25, v25, v28 dst_sel:DWORD dst_unused:UNUSED_PAD src0_sel:WORD_0 src1_sel:DWORD
	global_load_dwordx4 v[16:19], v0, s[12:13]
	v_mad_i32_i24 v0, 0xffffffdc, v22, v15
	v_mul_u32_u24_sdwa v26, v26, v28 dst_sel:DWORD dst_unused:UNUSED_PAD src0_sel:WORD_0 src1_sel:DWORD
	v_lshlrev_b32_sdwa v27, v29, v27 dst_sel:DWORD dst_unused:UNUSED_PAD src0_sel:DWORD src1_sel:BYTE_0
	v_lshlrev_b32_sdwa v8, v29, v8 dst_sel:DWORD dst_unused:UNUSED_PAD src0_sel:DWORD src1_sel:BYTE_0
	v_add_nc_u32_e32 v23, 0x200, v0
	v_add_nc_u32_e32 v6, 0x400, v0
	v_add_nc_u32_e32 v20, 0x800, v0
	ds_read2_b32 v[9:10], v0 offset1:170
	ds_read_b32 v7, v5
	ds_read2_b32 v[5:6], v6 offset0:169 offset1:254
	ds_read2_b32 v[20:21], v20 offset0:83 offset1:168
	ds_read_b32 v0, v0 offset:3060
	ds_read2_b32 v[23:24], v23 offset0:127 offset1:212
	v_add3_u32 v25, 0, v25, v27
	v_add3_u32 v26, 0, v26, v8
	s_waitcnt vmcnt(0) lgkmcnt(0)
	s_barrier
	buffer_gl0_inv
	v_lshrrev_b32_e32 v29, 16, v10
	v_lshrrev_b32_e32 v38, 16, v9
	;; [unrolled: 1-line block ×10, first 2 shown]
	v_mul_f16_sdwa v34, v11, v29 dst_sel:DWORD dst_unused:UNUSED_PAD src0_sel:WORD_1 src1_sel:DWORD
	v_mul_f16_sdwa v35, v11, v10 dst_sel:DWORD dst_unused:UNUSED_PAD src0_sel:WORD_1 src1_sel:DWORD
	;; [unrolled: 1-line block ×10, first 2 shown]
	v_mul_f16_sdwa v45, v8, v17 dst_sel:DWORD dst_unused:UNUSED_PAD src0_sel:DWORD src1_sel:WORD_1
	v_mul_f16_sdwa v46, v5, v17 dst_sel:DWORD dst_unused:UNUSED_PAD src0_sel:DWORD src1_sel:WORD_1
	;; [unrolled: 1-line block ×6, first 2 shown]
	v_fma_f16 v10, v11, v10, -v34
	v_fmac_f16_e32 v35, v11, v29
	v_fma_f16 v11, v12, v24, -v36
	v_fmac_f16_e32 v37, v12, v30
	;; [unrolled: 2-line block ×8, first 2 shown]
	v_add_f16_e32 v0, v9, v10
	v_add_f16_e32 v8, v11, v6
	v_add_f16_e32 v20, v10, v21
	v_add_f16_e32 v28, v37, v40
	v_add_f16_e32 v33, v35, v48
	v_add_f16_e32 v27, v38, v35
	v_add_f16_e32 v39, v5, v13
	v_sub_f16_e32 v42, v12, v5
	v_sub_f16_e32 v45, v16, v13
	v_add_f16_e32 v56, v46, v49
	v_add_f16_e32 v36, v7, v12
	;; [unrolled: 1-line block ×4, first 2 shown]
	v_sub_f16_e32 v17, v35, v48
	v_sub_f16_e32 v18, v37, v40
	;; [unrolled: 1-line block ×9, first 2 shown]
	v_add_f16_e32 v55, v41, v44
	v_sub_f16_e32 v57, v12, v16
	v_sub_f16_e32 v12, v44, v46
	v_sub_f16_e32 v44, v46, v44
	v_sub_f16_e32 v61, v49, v51
	v_add_f16_e32 v0, v0, v11
	v_fma_f16 v10, -0.5, v8, v9
	v_fmac_f16_e32 v9, -0.5, v20
	v_fma_f16 v43, -0.5, v28, v38
	v_fmac_f16_e32 v38, -0.5, v33
	v_sub_f16_e32 v24, v6, v21
	v_sub_f16_e32 v31, v35, v37
	;; [unrolled: 1-line block ×4, first 2 shown]
	v_add_f16_e32 v11, v27, v37
	v_fma_f16 v8, -0.5, v39, v7
	v_add_f16_e32 v27, v42, v45
	v_fma_f16 v42, -0.5, v56, v41
	v_sub_f16_e32 v34, v37, v35
	v_sub_f16_e32 v35, v40, v48
	;; [unrolled: 1-line block ×4, first 2 shown]
	v_add_f16_e32 v5, v36, v5
	v_fmac_f16_e32 v7, -0.5, v47
	v_fmac_f16_e32 v41, -0.5, v60
	v_add_f16_e32 v19, v14, v19
	v_add_f16_e32 v33, v44, v61
	;; [unrolled: 1-line block ×3, first 2 shown]
	v_fmamk_f16 v6, v17, 0x3b9c, v10
	v_fmamk_f16 v14, v18, 0xbb9c, v9
	v_fmac_f16_e32 v9, 0x3b9c, v18
	v_fmamk_f16 v44, v29, 0xbb9c, v43
	v_fmamk_f16 v45, v30, 0x3b9c, v38
	v_fmac_f16_e32 v38, 0xbb9c, v30
	v_fmac_f16_e32 v10, 0xbb9c, v17
	;; [unrolled: 1-line block ×3, first 2 shown]
	v_add_f16_e32 v20, v23, v24
	v_add_f16_e32 v23, v31, v32
	;; [unrolled: 1-line block ×4, first 2 shown]
	v_fmamk_f16 v12, v50, 0x3b9c, v8
	v_fmamk_f16 v46, v57, 0xbb9c, v42
	v_sub_f16_e32 v54, v13, v16
	v_add_f16_e32 v24, v34, v35
	v_add_f16_e32 v34, v5, v13
	v_fmamk_f16 v13, v52, 0xbb9c, v7
	v_fmac_f16_e32 v7, 0x3b9c, v52
	v_fmamk_f16 v47, v58, 0x3b9c, v41
	v_fmac_f16_e32 v41, 0xbb9c, v58
	v_add_f16_e32 v11, v11, v40
	v_fmac_f16_e32 v8, 0xbb9c, v50
	v_fmac_f16_e32 v42, 0x3b9c, v57
	;; [unrolled: 1-line block ×10, first 2 shown]
	v_add_f16_e32 v31, v31, v49
	v_fmac_f16_e32 v12, 0x38b4, v52
	v_fmac_f16_e32 v46, 0xb8b4, v58
	v_add_f16_e32 v28, v53, v54
	v_fmac_f16_e32 v13, 0x38b4, v50
	v_fmac_f16_e32 v7, 0xb8b4, v50
	;; [unrolled: 1-line block ×4, first 2 shown]
	v_add_f16_e32 v5, v0, v21
	v_add_f16_e32 v0, v11, v48
	v_fmac_f16_e32 v8, 0xb8b4, v52
	v_fmac_f16_e32 v42, 0x38b4, v58
	;; [unrolled: 1-line block ×10, first 2 shown]
	v_add_f16_e32 v11, v34, v16
	v_add_f16_e32 v48, v31, v51
	v_fmac_f16_e32 v12, 0x34f2, v27
	v_fmac_f16_e32 v46, 0x34f2, v32
	;; [unrolled: 1-line block ×8, first 2 shown]
	v_pack_b32_f16 v16, v5, v0
	v_pack_b32_f16 v18, v6, v44
	;; [unrolled: 1-line block ×10, first 2 shown]
	ds_write2_b32 v25, v16, v18 offset1:10
	ds_write2_b32 v25, v19, v20 offset0:20 offset1:30
	ds_write_b32 v25, v21 offset:160
	ds_write2_b32 v26, v17, v23 offset1:10
	ds_write2_b32 v26, v24, v27 offset0:20 offset1:30
	ds_write_b32 v26, v28 offset:160
	s_waitcnt lgkmcnt(0)
	s_barrier
	buffer_gl0_inv
                                        ; implicit-def: $vgpr50
                                        ; implicit-def: $vgpr49
                                        ; implicit-def: $vgpr54
                                        ; implicit-def: $vgpr21
                                        ; implicit-def: $vgpr55
                                        ; implicit-def: $vgpr56
                                        ; implicit-def: $vgpr19
                                        ; implicit-def: $vgpr53
                                        ; implicit-def: $vgpr52
                                        ; implicit-def: $vgpr17
                                        ; implicit-def: $vgpr51
	s_and_saveexec_b32 s1, s0
	s_cbranch_execz .LBB0_15
; %bb.14:
	v_mul_i32_i24_e32 v0, 0xffffffdc, v22
	v_add_nc_u32_e32 v0, v15, v0
	ds_read2_b32 v[5:6], v0 offset1:50
	ds_read_b32 v49, v0 offset:3200
	v_add_nc_u32_e32 v9, 0x400, v0
	v_add_nc_u32_e32 v12, 0x600, v0
	ds_read2_b32 v[14:15], v0 offset0:100 offset1:150
	ds_read2_b32 v[10:11], v0 offset0:200 offset1:250
	v_add_nc_u32_e32 v0, 0x800, v0
	ds_read2_b32 v[7:8], v9 offset0:144 offset1:194
	ds_read2_b32 v[16:17], v12 offset0:116 offset1:166
	ds_read2_b32 v[18:19], v0 offset0:88 offset1:138
	ds_read2_b32 v[20:21], v0 offset0:188 offset1:238
	ds_read2_b32 v[12:13], v9 offset0:44 offset1:94
	s_waitcnt lgkmcnt(8)
	v_lshrrev_b32_e32 v0, 16, v5
	s_waitcnt lgkmcnt(7)
	v_lshrrev_b32_e32 v50, 16, v49
	v_lshrrev_b32_e32 v44, 16, v6
	s_waitcnt lgkmcnt(6)
	v_lshrrev_b32_e32 v45, 16, v14
	;; [unrolled: 3-line block ×8, first 2 shown]
	v_lshrrev_b32_e32 v47, 16, v13
	v_mov_b32_e32 v9, v15
.LBB0_15:
	s_or_b32 exec_lo, exec_lo, s1
	v_cmp_gt_u32_e64 s1, 50, v22
	s_and_b32 s1, vcc_lo, s1
	s_and_saveexec_b32 s6, s1
	s_cbranch_execz .LBB0_17
; %bb.16:
	v_lshlrev_b32_e32 v15, 4, v22
	v_mov_b32_e32 v24, 0
	v_mad_u64_u32 v[92:93], null, s4, v3, 0
	v_add_nc_u32_e32 v23, 0xfffffce0, v15
	v_cndmask_b32_e64 v23, v23, v15, s0
	v_mul_lo_u32 v15, s5, v3
	v_lshlrev_b64 v[23:24], 2, v[23:24]
	v_add_co_u32 v23, vcc_lo, s12, v23
	v_add_co_ci_u32_e32 v24, vcc_lo, s13, v24, vcc_lo
	s_clause 0x3
	global_load_dwordx4 v[57:60], v[23:24], off offset:160
	global_load_dwordx4 v[61:64], v[23:24], off offset:208
	;; [unrolled: 1-line block ×4, first 2 shown]
	v_mul_lo_u32 v23, s4, v4
	v_add3_u32 v93, v93, v23, v15
	s_waitcnt vmcnt(3)
	v_mul_f16_sdwa v35, v6, v57 dst_sel:DWORD dst_unused:UNUSED_PAD src0_sel:DWORD src1_sel:WORD_1
	s_waitcnt vmcnt(2)
	v_mul_f16_sdwa v15, v49, v64 dst_sel:DWORD dst_unused:UNUSED_PAD src0_sel:DWORD src1_sel:WORD_1
	v_mul_f16_sdwa v39, v45, v58 dst_sel:DWORD dst_unused:UNUSED_PAD src0_sel:DWORD src1_sel:WORD_1
	;; [unrolled: 1-line block ×9, first 2 shown]
	v_fmac_f16_e32 v35, v44, v57
	v_fmac_f16_e32 v15, v50, v64
	v_mul_f16_sdwa v30, v9, v59 dst_sel:DWORD dst_unused:UNUSED_PAD src0_sel:DWORD src1_sel:WORD_1
	v_mul_f16_sdwa v76, v43, v60 dst_sel:DWORD dst_unused:UNUSED_PAD src0_sel:DWORD src1_sel:WORD_1
	;; [unrolled: 1-line block ×5, first 2 shown]
	s_waitcnt vmcnt(1)
	v_mul_f16_sdwa v80, v48, v65 dst_sel:DWORD dst_unused:UNUSED_PAD src0_sel:DWORD src1_sel:WORD_1
	s_waitcnt vmcnt(0)
	v_mul_f16_sdwa v81, v53, v72 dst_sel:DWORD dst_unused:UNUSED_PAD src0_sel:DWORD src1_sel:WORD_1
	v_mul_f16_sdwa v82, v46, v66 dst_sel:DWORD dst_unused:UNUSED_PAD src0_sel:DWORD src1_sel:WORD_1
	;; [unrolled: 1-line block ×8, first 2 shown]
	v_fma_f16 v40, v14, v58, -v39
	v_fma_f16 v39, v9, v59, -v73
	v_fmac_f16_e32 v32, v45, v58
	v_fmac_f16_e32 v29, v43, v60
	v_fma_f16 v43, v6, v57, -v74
	v_fma_f16 v9, v49, v64, -v75
	v_fmac_f16_e32 v23, v54, v63
	v_fmac_f16_e32 v25, v56, v61
	v_sub_f16_e32 v56, v35, v15
	v_mul_f16_sdwa v24, v20, v62 dst_sel:DWORD dst_unused:UNUSED_PAD src0_sel:DWORD src1_sel:WORD_1
	v_mul_f16_sdwa v26, v18, v72 dst_sel:DWORD dst_unused:UNUSED_PAD src0_sel:DWORD src1_sel:WORD_1
	;; [unrolled: 1-line block ×8, first 2 shown]
	v_fmac_f16_e32 v30, v38, v59
	v_fma_f16 v38, v10, v60, -v76
	v_fma_f16 v10, v21, v63, -v77
	;; [unrolled: 1-line block ×11, first 2 shown]
	v_fmac_f16_e32 v33, v42, v69
	v_sub_f16_e32 v8, v43, v9
	v_add_f16_e32 v42, v43, v9
	v_sub_f16_e32 v74, v32, v23
	v_mul_f16_e32 v117, 0xb1e1, v56
	v_fmac_f16_e32 v24, v55, v62
	v_add_f16_e32 v6, v35, v15
	v_sub_f16_e32 v98, v40, v10
	v_add_f16_e32 v21, v40, v10
	v_mul_f16_e32 v118, 0xb836, v56
	v_mul_f16_e32 v123, 0xba62, v56
	;; [unrolled: 1-line block ×8, first 2 shown]
	v_fma_f16 v162, v42, 0xbbdd, -v117
	v_fma_f16 v19, v19, v61, -v79
	v_fmac_f16_e32 v37, v41, v68
	v_add_f16_e32 v3, v5, v43
	v_add_f16_e32 v41, v32, v23
	v_sub_f16_e32 v120, v39, v14
	v_sub_f16_e32 v91, v30, v24
	v_mul_f16_e32 v155, 0xb1e1, v8
	v_mul_f16_e32 v146, 0xbbf7, v56
	;; [unrolled: 1-line block ×10, first 2 shown]
	v_fma_f16 v167, v42, 0xbacd, -v118
	v_fma_f16 v168, v42, 0xb8d2, -v123
	;; [unrolled: 1-line block ×5, first 2 shown]
	v_fmac_f16_e32 v152, 0x39e9, v42
	v_fma_f16 v175, v21, 0x3b76, -v134
	v_fmamk_f16 v179, v6, 0xb8d2, v114
	v_fmamk_f16 v182, v6, 0xb461, v49
	v_add_f16_e32 v162, v5, v162
	v_fmac_f16_e32 v26, v53, v72
	v_fmac_f16_e32 v31, v48, v65
	buffer_store_dword v3, off, s[36:39], 0 ; 4-byte Folded Spill
	v_add_f16_e32 v44, v30, v24
	v_add_f16_e32 v43, v39, v14
	v_sub_f16_e32 v129, v38, v19
	v_sub_f16_e32 v104, v29, v25
	v_mul_f16_e32 v156, 0x35c8, v98
	v_mul_f16_e32 v75, 0xb1e1, v98
	v_mul_f16_e32 v65, 0xb1e1, v74
	v_mul_f16_e32 v108, 0xb5c8, v120
	v_mul_f16_e32 v100, 0xb5c8, v91
	v_mul_f16_e32 v94, 0x3964, v120
	v_mul_f16_e32 v84, 0x3964, v91
	v_fma_f16 v170, v42, 0x2de8, -v146
	v_fma_f16 v171, v42, 0x3722, -v148
	v_fmac_f16_e32 v117, 0xbbdd, v42
	v_fmac_f16_e32 v118, 0xbacd, v42
	;; [unrolled: 1-line block ×7, first 2 shown]
	v_fmamk_f16 v42, v6, 0xbbdd, v155
	v_fmamk_f16 v176, v6, 0xbacd, v136
	v_fma_f16 v178, v21, 0x3722, -v122
	v_fmamk_f16 v180, v41, 0xb461, v110
	v_fma_f16 v181, v21, 0xb461, -v101
	;; [unrolled: 2-line block ×3, first 2 shown]
	v_fmamk_f16 v186, v6, 0x2de8, v79
	v_add_f16_e32 v167, v5, v167
	v_add_f16_e32 v252, v5, v168
	;; [unrolled: 1-line block ×8, first 2 shown]
	v_fmac_f16_e32 v27, v52, v71
	v_fmac_f16_e32 v34, v46, v66
	v_add_f16_e32 v46, v29, v25
	v_add_f16_e32 v45, v38, v19
	v_sub_f16_e32 v142, v20, v11
	v_sub_f16_e32 v116, v31, v26
	v_mul_f16_e32 v133, 0x3b29, v98
	v_mul_f16_e32 v63, 0xbb29, v8
	v_mul_f16_e32 v157, 0xb836, v120
	v_mul_f16_e32 v141, 0xb836, v91
	v_mul_f16_e32 v125, 0xbbf7, v91
	v_mul_f16_e32 v81, 0x3bb2, v120
	v_mul_f16_e32 v66, 0x3bb2, v91
	v_mul_f16_e32 v112, 0xb836, v129
	v_mul_f16_e32 v103, 0xb836, v104
	v_mul_f16_e32 v96, 0xbb29, v129
	v_mul_f16_e32 v87, 0xbb29, v104
	v_fmamk_f16 v174, v41, 0x3b76, v156
	v_fmamk_f16 v187, v41, 0xbbdd, v75
	v_fma_f16 v188, v21, 0xbbdd, -v65
	v_fmamk_f16 v196, v44, 0x3b76, v108
	v_fma_f16 v197, v43, 0x3b76, -v100
	;; [unrolled: 2-line block ×3, first 2 shown]
	v_add_f16_e32 v254, v5, v170
	v_add_f16_e32 v255, v5, v171
	v_add_f16_e32 v172, v5, v172
	v_add_f16_e32 v117, v5, v117
	v_add_f16_e32 v118, v5, v118
	v_add_f16_e32 v123, v5, v123
	v_add_f16_e32 v185, v5, v124
	v_add_f16_e32 v171, v5, v146
	v_add_f16_e32 v170, v5, v148
	v_add_f16_e32 v42, v0, v42
	v_add_f16_e32 v168, v5, v153
	v_add_f16_e32 v5, v0, v176
	v_add_f16_e32 v167, v167, v178
	v_add_f16_e32 v176, v0, v186
	v_add_f16_e32 v173, v173, v180
	v_add_f16_e32 v178, v252, v181
	v_add_f16_e32 v175, v175, v183
	v_add_f16_e32 v179, v253, v184
	v_fmac_f16_e32 v28, v51, v70
	v_fmac_f16_e32 v36, v47, v67
	v_add_f16_e32 v48, v31, v26
	v_add_f16_e32 v47, v20, v11
	v_sub_f16_e32 v154, v18, v12
	v_sub_f16_e32 v121, v34, v27
	v_mul_f16_e32 v61, 0xba62, v98
	v_mul_f16_e32 v138, 0xbbf7, v120
	;; [unrolled: 1-line block ×11, first 2 shown]
	v_fmamk_f16 v177, v41, 0x3722, v133
	v_fmamk_f16 v189, v6, 0x3722, v63
	;; [unrolled: 1-line block ×3, first 2 shown]
	v_fma_f16 v193, v43, 0xbacd, -v141
	v_fma_f16 v195, v43, 0x2de8, -v125
	v_fmamk_f16 v200, v44, 0xb461, v81
	v_fma_f16 v201, v43, 0xb461, -v66
	v_fmamk_f16 v208, v46, 0xbacd, v112
	;; [unrolled: 2-line block ×3, first 2 shown]
	v_fma_f16 v211, v45, 0x3722, -v87
	v_add_f16_e32 v42, v42, v174
	v_add_f16_e32 v176, v176, v187
	;; [unrolled: 1-line block ×9, first 2 shown]
	v_sub_f16_e32 v161, v17, v13
	v_sub_f16_e32 v132, v36, v28
	v_mul_f16_e32 v58, 0x31e1, v120
	v_mul_f16_e32 v135, 0x3a62, v129
	;; [unrolled: 1-line block ×11, first 2 shown]
	v_fmamk_f16 v190, v41, 0xb8d2, v61
	v_fmamk_f16 v194, v44, 0x2de8, v138
	;; [unrolled: 1-line block ×3, first 2 shown]
	v_fma_f16 v205, v45, 0x39e9, -v147
	v_fma_f16 v207, v45, 0xb8d2, -v128
	v_fmamk_f16 v212, v46, 0x3b76, v76
	v_fma_f16 v213, v45, 0x3b76, -v69
	v_fmamk_f16 v219, v48, 0x2de8, v107
	;; [unrolled: 2-line block ×3, first 2 shown]
	v_fma_f16 v222, v47, 0xbbdd, -v82
	v_add_f16_e32 v5, v5, v177
	v_add_f16_e32 v177, v0, v189
	;; [unrolled: 1-line block ×13, first 2 shown]
	v_sub_f16_e32 v166, v16, v7
	v_sub_f16_e32 v150, v37, v33
	v_mul_f16_e32 v56, 0xba62, v74
	v_mul_f16_e32 v60, 0x3bb2, v129
	;; [unrolled: 1-line block ×12, first 2 shown]
	v_fmamk_f16 v202, v44, 0xbbdd, v58
	v_fmamk_f16 v206, v46, 0xb8d2, v135
	;; [unrolled: 1-line block ×3, first 2 shown]
	v_fma_f16 v216, v47, 0xb8d2, -v139
	v_fma_f16 v218, v47, 0x3b76, -v127
	v_fmamk_f16 v223, v48, 0x3722, v80
	v_fma_f16 v224, v47, 0x3722, -v68
	v_fmamk_f16 v230, v51, 0x39e9, v111
	;; [unrolled: 2-line block ×3, first 2 shown]
	v_fma_f16 v233, v50, 0x2de8, -v85
	v_add_f16_e32 v177, v177, v190
	v_add_f16_e32 v5, v5, v194
	;; [unrolled: 1-line block ×13, first 2 shown]
	v_mul_f16_e32 v57, 0x3964, v142
	v_mul_f16_e32 v140, 0xb1e1, v154
	;; [unrolled: 1-line block ×12, first 2 shown]
	v_fma_f16 v191, v21, 0xb8d2, -v56
	v_fmamk_f16 v214, v46, 0xb461, v60
	v_fmamk_f16 v217, v48, 0x3b76, v137
	;; [unrolled: 1-line block ×3, first 2 shown]
	v_fma_f16 v227, v50, 0x3722, -v143
	v_fma_f16 v229, v50, 0xbbdd, -v130
	v_fmamk_f16 v234, v51, 0xbacd, v83
	v_fma_f16 v235, v50, 0xbacd, -v70
	v_fmamk_f16 v241, v52, 0xbbdd, v115
	;; [unrolled: 2-line block ×3, first 2 shown]
	v_fma_f16 v244, v53, 0x3b76, -v88
	v_add_f16_e32 v177, v177, v202
	v_add_f16_e32 v5, v5, v206
	;; [unrolled: 1-line block ×11, first 2 shown]
	v_mul_f16_e32 v59, 0xb5c8, v154
	v_mul_f16_e32 v144, 0x3964, v161
	;; [unrolled: 1-line block ×8, first 2 shown]
	v_fma_f16 v204, v43, 0xbbdd, -v73
	v_fmamk_f16 v225, v48, 0x39e9, v57
	v_fmamk_f16 v228, v51, 0xbbdd, v140
	v_fmamk_f16 v237, v52, 0xb461, v158
	v_fma_f16 v238, v53, 0xb461, -v149
	v_fma_f16 v240, v53, 0x39e9, -v126
	v_fmamk_f16 v245, v52, 0xb8d2, v86
	v_fma_f16 v246, v53, 0xb8d2, -v67
	v_fmamk_f16 v124, v55, 0x3722, v119
	;; [unrolled: 2-line block ×3, first 2 shown]
	v_fma_f16 v153, v54, 0xb8d2, -v90
	v_add_f16_e32 v181, v255, v191
	v_add_f16_e32 v177, v177, v214
	;; [unrolled: 1-line block ×12, first 2 shown]
	v_mul_f16_e32 v62, 0xbbf7, v161
	v_mul_f16_e32 v145, 0xbbb2, v166
	;; [unrolled: 1-line block ×4, first 2 shown]
	v_fmamk_f16 v236, v51, 0x3b76, v59
	v_fmamk_f16 v239, v52, 0x39e9, v144
	;; [unrolled: 1-line block ×3, first 2 shown]
	v_fma_f16 v249, v54, 0x2de8, -v151
	v_fma_f16 v251, v54, 0xb461, -v131
	;; [unrolled: 1-line block ×3, first 2 shown]
	v_fmamk_f16 v174, v55, 0x39e9, v89
	v_add_f16_e32 v181, v181, v204
	v_add_f16_e32 v177, v177, v225
	;; [unrolled: 1-line block ×12, first 2 shown]
	v_fmamk_f16 v153, v6, 0x39e9, v165
	v_mul_f16_e32 v180, 0xbbf7, v98
	v_mul_f16_e32 v64, 0xb836, v166
	v_fmamk_f16 v247, v52, 0x2de8, v62
	v_fmamk_f16 v250, v55, 0xb461, v145
	v_add_f16_e32 v177, v177, v236
	v_add_f16_e32 v182, v5, v239
	;; [unrolled: 1-line block ×5, first 2 shown]
	v_fma_f16 v167, v54, 0x39e9, -v78
	v_add_f16_e32 v162, v181, v162
	v_fma_f16 v173, v47, 0x39e9, -v71
	v_mul_f16_e32 v175, 0xb5c8, v121
	v_add_f16_e32 v152, v176, v174
	v_add_f16_e32 v174, v0, v153
	v_fmamk_f16 v176, v41, 0x2de8, v180
	v_mul_f16_e32 v181, 0xba62, v120
	v_add_f16_e32 v177, v177, v247
	v_add_f16_e32 v188, v182, v250
	v_add_f16_e32 v153, v183, v167
	v_fmamk_f16 v167, v55, 0xbacd, v64
	v_add_f16_e32 v173, v162, v173
	v_add_f16_e32 v174, v174, v176
	v_fmamk_f16 v176, v44, 0xb8d2, v181
	v_mul_f16_e32 v182, 0xb1e1, v129
	v_fma_f16 v179, v50, 0x3b76, -v175
	v_add_f16_e32 v162, v177, v167
	v_mul_f16_e32 v183, 0x3836, v142
	v_add_f16_e32 v167, v174, v176
	v_fmamk_f16 v174, v46, 0xbbdd, v182
	v_add_f16_e32 v173, v173, v179
	v_mul_f16_e32 v179, 0xbbf7, v74
	v_mul_f16_e32 v178, 0xbbf7, v132
	;; [unrolled: 1-line block ×3, first 2 shown]
	v_add_f16_e32 v167, v167, v174
	v_fmamk_f16 v174, v48, 0xbacd, v183
	v_fma_f16 v176, v21, 0x2de8, -v179
	v_mul_f16_e32 v177, 0xba62, v91
	v_fma_f16 v191, v53, 0x2de8, -v178
	v_mul_f16_e32 v184, 0x3b29, v161
	v_add_f16_e32 v167, v167, v174
	v_fmamk_f16 v174, v51, 0xb461, v186
	v_add_f16_e32 v172, v172, v176
	v_fma_f16 v192, v43, 0xb8d2, -v177
	v_mul_f16_e32 v176, 0xb1e1, v104
	v_add_f16_e32 v191, v173, v191
	v_add_f16_e32 v167, v167, v174
	v_fmamk_f16 v173, v52, 0x3722, v184
	v_add_f16_e32 v192, v172, v192
	v_fma_f16 v193, v45, 0xbbdd, -v176
	v_mul_f16_e32 v174, 0x3836, v116
	v_mul_f16_e32 v187, 0xb836, v150
	v_add_f16_e32 v195, v167, v173
	v_mul_f16_e32 v173, 0x3bb2, v121
	v_add_f16_e32 v192, v192, v193
	v_fma_f16 v193, v47, 0xbacd, -v174
	v_fma_f16 v194, v54, 0xbacd, -v187
	v_add_f16_e32 v35, v0, v35
	v_mul_f16_e32 v98, 0xb964, v98
	v_mul_f16_e32 v120, 0xbb29, v120
	v_add_f16_e32 v192, v192, v193
	v_fma_f16 v193, v50, 0xb461, -v173
	v_add_f16_e32 v167, v191, v194
	v_mul_f16_e32 v191, 0xb5c8, v8
	v_add_f16_e32 v35, v35, v32
	v_mul_f16_e32 v129, 0xbbf7, v129
	v_add_f16_e32 v192, v192, v193
	buffer_load_dword v193, off, s[36:39], 0 ; 4-byte Folded Reload
	v_fmamk_f16 v194, v6, 0x3b76, v191
	v_add_f16_e32 v30, v35, v30
	v_mul_f16_e32 v32, 0x3b29, v132
	v_fmac_f16_e32 v134, 0x3b76, v21
	v_fmac_f16_e32 v141, 0xbacd, v43
	;; [unrolled: 1-line block ×3, first 2 shown]
	v_add_f16_e32 v29, v30, v29
	v_fmac_f16_e32 v139, 0xb8d2, v47
	v_fmac_f16_e32 v122, 0x3722, v21
	;; [unrolled: 1-line block ×4, first 2 shown]
	v_add_f16_e32 v29, v29, v31
	v_fmac_f16_e32 v149, 0xb461, v53
	v_fmac_f16_e32 v128, 0xb8d2, v45
	;; [unrolled: 1-line block ×10, first 2 shown]
	v_fma_f16 v4, v41, 0xbacd, -v4
	v_fmac_f16_e32 v105, 0x2de8, v47
	v_fmac_f16_e32 v106, 0x39e9, v50
	;; [unrolled: 1-line block ×30, first 2 shown]
	v_mul_f16_e32 v172, 0x35c8, v166
	v_fmamk_f16 v196, v55, 0x3b76, v172
	v_add_f16_e32 v8, v195, v196
	s_waitcnt vmcnt(0)
	v_add_f16_e32 v40, v193, v40
	v_add_f16_e32 v193, v0, v194
	v_fmamk_f16 v194, v41, 0x39e9, v98
	v_add_f16_e32 v39, v40, v39
	v_fmamk_f16 v40, v44, 0x3722, v120
	v_add_f16_e32 v35, v193, v194
	v_fma_f16 v193, v53, 0x3722, -v32
	v_fmac_f16_e32 v32, 0x3722, v53
	v_add_f16_e32 v38, v39, v38
	v_mul_f16_e32 v39, 0xbbb2, v142
	v_add_f16_e32 v30, v35, v40
	v_fmamk_f16 v35, v46, 0x2de8, v129
	v_add_f16_e32 v40, v192, v193
	v_add_f16_e32 v20, v38, v20
	v_fmamk_f16 v31, v48, 0xb461, v39
	v_mul_f16_e32 v38, 0x35c8, v150
	v_add_f16_e32 v30, v30, v35
	v_mul_f16_e32 v35, 0xba62, v154
	v_add_f16_e32 v18, v20, v18
	v_add_f16_e32 v20, v29, v34
	v_fma_f16 v34, v54, 0x3b76, -v38
	v_add_f16_e32 v29, v30, v31
	v_fmamk_f16 v30, v51, 0xb8d2, v35
	v_mul_f16_e32 v31, 0xb836, v161
	v_add_f16_e32 v18, v18, v17
	v_add_f16_e32 v20, v20, v36
	v_mul_f16_e32 v36, 0xb964, v74
	v_add_f16_e32 v29, v29, v30
	v_fmamk_f16 v30, v52, 0xbacd, v31
	v_add_f16_e32 v16, v18, v16
	v_add_f16_e32 v18, v20, v37
	v_add_f16_e32 v17, v40, v34
	v_fmac_f16_e32 v38, 0x3b76, v54
	v_add_f16_e32 v20, v29, v30
	v_fma_f16 v29, v21, 0x39e9, -v36
	v_mul_f16_e32 v30, 0xbb29, v91
	v_add_f16_e32 v7, v16, v7
	v_add_f16_e32 v16, v18, v33
	v_mul_f16_e32 v18, 0xb1e1, v166
	v_add_f16_e32 v3, v3, v29
	v_fma_f16 v29, v43, 0x3722, -v30
	v_mul_f16_e32 v33, 0xbbf7, v104
	v_add_f16_e32 v7, v13, v7
	v_fmamk_f16 v13, v55, 0xbbdd, v18
	v_add_f16_e32 v16, v28, v16
	v_add_f16_e32 v3, v3, v29
	v_fma_f16 v28, v45, 0x2de8, -v33
	v_mul_f16_e32 v29, 0xbbb2, v116
	v_add_f16_e32 v13, v20, v13
	v_add_f16_e32 v7, v12, v7
	;; [unrolled: 1-line block ×4, first 2 shown]
	v_fma_f16 v16, v47, 0xb461, -v29
	v_fma_f16 v20, v6, 0xbbdd, -v155
	v_add_f16_e32 v7, v11, v7
	v_add_f16_e32 v11, v26, v12
	v_mul_f16_e32 v26, 0xba62, v121
	v_add_f16_e32 v3, v3, v16
	v_add_f16_e32 v12, v0, v20
	v_fma_f16 v16, v41, 0x3b76, -v156
	v_add_f16_e32 v7, v19, v7
	v_fma_f16 v19, v50, 0xb8d2, -v26
	v_mul_f16_e32 v20, 0xb836, v132
	v_add_f16_e32 v11, v25, v11
	v_add_f16_e32 v12, v12, v16
	v_fma_f16 v16, v44, 0xbacd, -v157
	v_add_f16_e32 v3, v3, v19
	v_add_f16_e32 v7, v14, v7
	v_fma_f16 v14, v53, 0xbacd, -v20
	v_mul_f16_e32 v25, 0xb1e1, v150
	v_add_f16_e32 v12, v12, v16
	v_fma_f16 v16, v46, 0x39e9, -v159
	v_add_f16_e32 v11, v24, v11
	v_add_f16_e32 v3, v3, v14
	v_fma_f16 v14, v54, 0xbbdd, -v25
	v_add_f16_e32 v7, v10, v7
	;; [unrolled: 3-line block ×3, first 2 shown]
	v_add_f16_e32 v27, v3, v14
	v_add_f16_e32 v28, v9, v7
	v_fma_f16 v7, v51, 0x3722, -v163
	v_add_f16_e32 v3, v10, v12
	v_fma_f16 v9, v6, 0xbacd, -v136
	v_add_f16_e32 v10, v117, v134
	v_add_f16_e32 v34, v15, v11
	v_fma_f16 v11, v41, 0x3722, -v133
	v_add_f16_e32 v3, v3, v7
	v_fma_f16 v7, v52, 0xb461, -v158
	v_add_f16_e32 v9, v0, v9
	v_add_f16_e32 v10, v10, v141
	v_fma_f16 v12, v52, 0x39e9, -v144
	v_fma_f16 v15, v41, 0xb461, -v110
	v_add_f16_e32 v3, v3, v7
	v_fma_f16 v7, v55, 0x2de8, -v160
	v_add_f16_e32 v9, v9, v11
	;; [unrolled: 2-line block ×4, first 2 shown]
	v_fmac_f16_e32 v36, 0x39e9, v21
	v_add_f16_e32 v3, v9, v11
	v_fma_f16 v9, v46, 0xb8d2, -v135
	v_add_f16_e32 v10, v10, v139
	v_add_f16_e32 v11, v118, v122
	v_fmac_f16_e32 v30, 0x3722, v43
	v_fmac_f16_e32 v33, 0x2de8, v45
	v_add_f16_e32 v3, v3, v9
	v_fma_f16 v9, v48, 0x3b76, -v137
	v_add_f16_e32 v10, v10, v143
	v_add_f16_e32 v11, v11, v125
	v_fmac_f16_e32 v29, 0xb461, v47
	;; [unrolled: 6-line block ×3, first 2 shown]
	v_fma_f16 v21, v55, 0x3b76, -v172
	v_add_f16_e32 v3, v3, v9
	v_add_f16_e32 v9, v10, v151
	v_fma_f16 v10, v6, 0xb8d2, -v114
	v_add_f16_e32 v11, v11, v127
	v_fmac_f16_e32 v25, 0xbbdd, v54
	v_add_f16_e32 v3, v3, v12
	v_fma_f16 v12, v55, 0xb461, -v145
	v_add_f16_e32 v14, v0, v10
	v_add_f16_e32 v11, v11, v130
	v_fma_f16 v24, v55, 0xbbdd, -v18
	v_pack_b32_f16 v27, v27, v13
	v_add_f16_e32 v10, v3, v12
	v_add_f16_e32 v3, v14, v15
	v_fma_f16 v12, v44, 0x3b76, -v108
	v_add_f16_e32 v11, v11, v126
	v_add_f16_e32 v14, v123, v101
	v_fma_f16 v15, v48, 0xbbdd, -v99
	v_pack_b32_f16 v8, v17, v8
	v_add_f16_e32 v3, v3, v12
	v_fma_f16 v12, v46, 0xbacd, -v112
	v_add_f16_e32 v37, v11, v131
	v_fma_f16 v11, v6, 0xb461, -v49
	v_add_f16_e32 v14, v14, v100
	v_add_f16_e32 v3, v3, v12
	v_fma_f16 v12, v48, 0x2de8, -v107
	v_add_f16_e32 v11, v0, v11
	v_add_f16_e32 v14, v14, v103
	v_add_f16_e32 v3, v3, v12
	v_fma_f16 v12, v51, 0x39e9, -v111
	v_add_f16_e32 v4, v11, v4
	v_fma_f16 v11, v44, 0x39e9, -v94
	v_add_f16_e32 v14, v14, v105
	v_add_f16_e32 v3, v3, v12
	v_fma_f16 v12, v52, 0xbbdd, -v115
	v_add_f16_e32 v4, v4, v11
	v_fma_f16 v11, v46, 0x3722, -v96
	v_add_f16_e32 v14, v14, v106
	v_add_f16_e32 v3, v3, v12
	v_fma_f16 v12, v55, 0x3722, -v119
	v_add_f16_e32 v4, v4, v11
	v_add_f16_e32 v14, v14, v109
	;; [unrolled: 1-line block ×4, first 2 shown]
	v_fma_f16 v4, v51, 0x2de8, -v97
	v_add_f16_e32 v40, v14, v113
	v_fma_f16 v12, v6, 0x2de8, -v79
	v_add_f16_e32 v14, v185, v77
	;; [unrolled: 2-line block ×4, first 2 shown]
	v_add_f16_e32 v14, v14, v84
	v_add_f16_e32 v3, v3, v4
	v_fma_f16 v4, v55, 0xb8d2, -v102
	v_add_f16_e32 v15, v12, v15
	v_add_f16_e32 v14, v14, v87
	;; [unrolled: 1-line block ×4, first 2 shown]
	v_fma_f16 v4, v46, 0x3b76, -v76
	v_add_f16_e32 v14, v14, v82
	v_add_f16_e32 v15, v171, v65
	v_fma_f16 v16, v41, 0xb8d2, -v61
	v_add_f16_e32 v3, v3, v4
	v_fma_f16 v4, v48, 0x3722, -v80
	v_add_f16_e32 v14, v14, v85
	v_add_f16_e32 v15, v15, v66
	;; [unrolled: 1-line block ×3, first 2 shown]
	v_fma_f16 v4, v51, 0xbacd, -v83
	v_add_f16_e32 v14, v14, v88
	v_add_f16_e32 v15, v15, v69
	;; [unrolled: 1-line block ×3, first 2 shown]
	v_fma_f16 v4, v52, 0xb8d2, -v86
	v_add_f16_e32 v49, v14, v90
	v_fma_f16 v14, v6, 0x3722, -v63
	v_add_f16_e32 v15, v15, v68
	v_add_f16_e32 v3, v3, v4
	v_fma_f16 v4, v55, 0x39e9, -v89
	v_add_f16_e32 v14, v0, v14
	v_add_f16_e32 v15, v15, v70
	;; [unrolled: 1-line block ×4, first 2 shown]
	v_fma_f16 v4, v44, 0xbbdd, -v58
	v_add_f16_e32 v14, v15, v67
	v_add_f16_e32 v15, v170, v56
	v_fma_f16 v16, v41, 0x2de8, -v180
	v_add_f16_e32 v3, v3, v4
	v_fma_f16 v4, v46, 0xb461, -v60
	;; [unrolled: 2-line block ×3, first 2 shown]
	v_add_f16_e32 v15, v15, v73
	v_add_f16_e32 v3, v3, v4
	v_fma_f16 v4, v48, 0x39e9, -v57
	v_add_f16_e32 v14, v0, v14
	v_add_f16_e32 v15, v15, v72
	;; [unrolled: 1-line block ×3, first 2 shown]
	v_fma_f16 v4, v51, 0x3b76, -v59
	v_add_f16_e32 v14, v14, v16
	v_fma_f16 v16, v44, 0xb8d2, -v181
	v_add_f16_e32 v15, v15, v71
	v_add_f16_e32 v3, v3, v4
	v_fma_f16 v4, v52, 0x2de8, -v62
	v_add_f16_e32 v14, v14, v16
	v_fma_f16 v16, v46, 0xbbdd, -v182
	v_add_f16_e32 v15, v15, v175
	v_add_f16_e32 v3, v3, v4
	;; [unrolled: 5-line block ×4, first 2 shown]
	v_add_f16_e32 v0, v0, v3
	v_fma_f16 v3, v41, 0x39e9, -v98
	v_add_f16_e32 v4, v4, v6
	v_fma_f16 v6, v52, 0x3722, -v184
	v_fma_f16 v16, v52, 0xbacd, -v31
	v_add_f16_e32 v0, v0, v3
	v_fma_f16 v3, v44, 0x3722, -v120
	v_add_f16_e32 v4, v4, v6
	v_add_f16_e32 v6, v14, v177
	;; [unrolled: 1-line block ×4, first 2 shown]
	v_fma_f16 v3, v46, 0x2de8, -v129
	v_add_f16_e32 v6, v6, v176
	v_add_f16_e32 v14, v14, v30
	v_add_f16_e32 v0, v0, v3
	v_fma_f16 v3, v48, 0xb461, -v39
	v_add_f16_e32 v14, v14, v33
	v_add_f16_e32 v6, v6, v174
	v_add_f16_e32 v0, v0, v3
	;; [unrolled: 4-line block ×3, first 2 shown]
	v_mad_u64_u32 v[14:15], null, s2, v22, 0
	v_add_f16_e32 v6, v6, v32
	v_add_f16_e32 v23, v0, v16
	;; [unrolled: 1-line block ×3, first 2 shown]
	v_add_nc_u32_e32 v26, 50, v22
	v_add_f16_e32 v29, v4, v21
	v_add_f16_e32 v30, v6, v38
	v_mov_b32_e32 v0, v15
	v_add_f16_e32 v3, v3, v20
	v_mad_u64_u32 v[18:19], null, s2, v26, 0
	v_add_nc_u32_e32 v6, 0x64, v22
	v_mad_u64_u32 v[15:16], null, s3, v22, v[0:1]
	v_add_f16_e32 v25, v3, v25
	v_lshlrev_b64 v[3:4], 2, v[92:93]
	v_lshlrev_b64 v[1:2], 2, v[1:2]
	v_mov_b32_e32 v0, v19
	v_mad_u64_u32 v[20:21], null, s2, v6, 0
	v_add_f16_e32 v31, v23, v24
	v_add_co_u32 v3, vcc_lo, s10, v3
	v_add_co_ci_u32_e32 v4, vcc_lo, s11, v4, vcc_lo
	v_mad_u64_u32 v[23:24], null, s3, v26, v[0:1]
	v_add_co_u32 v24, vcc_lo, v3, v1
	v_add_co_ci_u32_e32 v26, vcc_lo, v4, v2, vcc_lo
	v_lshlrev_b64 v[1:2], 2, v[14:15]
	v_mov_b32_e32 v0, v21
	v_mov_b32_e32 v19, v23
	v_pack_b32_f16 v23, v28, v34
	v_add_nc_u32_e32 v28, 0xc8, v22
	v_mad_u64_u32 v[3:4], null, s3, v6, v[0:1]
	v_add_nc_u32_e32 v6, 0x96, v22
	v_lshlrev_b64 v[14:15], 2, v[18:19]
	v_add_co_u32 v0, vcc_lo, v24, v1
	v_add_co_ci_u32_e32 v1, vcc_lo, v26, v2, vcc_lo
	v_mad_u64_u32 v[18:19], null, s2, v6, 0
	v_mov_b32_e32 v21, v3
	v_add_co_u32 v2, vcc_lo, v24, v14
	v_add_co_ci_u32_e32 v3, vcc_lo, v26, v15, vcc_lo
	v_lshlrev_b64 v[13:14], 2, v[20:21]
	v_mov_b32_e32 v4, v19
	v_mad_u64_u32 v[15:16], null, s2, v28, 0
	v_mad_u64_u32 v[19:20], null, s3, v6, v[4:5]
	v_add_nc_u32_e32 v6, 0xfa, v22
	v_add_co_u32 v13, vcc_lo, v24, v13
	v_add_co_ci_u32_e32 v14, vcc_lo, v26, v14, vcc_lo
	v_mad_u64_u32 v[20:21], null, s2, v6, 0
	global_store_dword v[0:1], v23, off
	global_store_dword v[2:3], v27, off
	;; [unrolled: 1-line block ×3, first 2 shown]
	v_lshlrev_b64 v[1:2], 2, v[18:19]
	v_mov_b32_e32 v4, v16
	v_add_nc_u32_e32 v8, 0x12c, v22
	v_add_nc_u32_e32 v23, 0x15e, v22
	v_pack_b32_f16 v27, v153, v152
	v_mov_b32_e32 v0, v21
	v_mad_u64_u32 v[16:17], null, s3, v28, v[4:5]
	v_mad_u64_u32 v[13:14], null, s2, v8, 0
	;; [unrolled: 1-line block ×3, first 2 shown]
	v_add_co_u32 v0, vcc_lo, v24, v1
	v_add_co_ci_u32_e32 v1, vcc_lo, v26, v2, vcc_lo
	v_mov_b32_e32 v2, v14
	v_lshlrev_b64 v[15:16], 2, v[15:16]
	v_mov_b32_e32 v21, v3
	v_mad_u64_u32 v[3:4], null, s2, v23, 0
	v_pack_b32_f16 v6, v167, v162
	v_lshlrev_b64 v[17:18], 2, v[20:21]
	v_add_co_u32 v15, vcc_lo, v24, v15
	v_add_co_ci_u32_e32 v16, vcc_lo, v26, v16, vcc_lo
	v_mad_u64_u32 v[19:20], null, s3, v8, v[2:3]
	v_mov_b32_e32 v2, v4
	v_add_co_u32 v17, vcc_lo, v24, v17
	v_add_nc_u32_e32 v8, 0x190, v22
	v_add_co_ci_u32_e32 v18, vcc_lo, v26, v18, vcc_lo
	v_mad_u64_u32 v[20:21], null, s3, v23, v[2:3]
	v_mov_b32_e32 v14, v19
	v_pack_b32_f16 v4, v148, v146
	global_store_dword v[0:1], v6, off
	global_store_dword v[15:16], v27, off
	;; [unrolled: 1-line block ×3, first 2 shown]
	v_lshlrev_b64 v[0:1], 2, v[13:14]
	v_mad_u64_u32 v[13:14], null, s2, v8, 0
	v_add_nc_u32_e32 v21, 0x1c2, v22
	v_mov_b32_e32 v4, v20
	v_add_nc_u32_e32 v27, 0x1f4, v22
	v_add_co_u32 v0, vcc_lo, v24, v0
	v_mad_u64_u32 v[15:16], null, s2, v21, 0
	v_lshlrev_b64 v[2:3], 2, v[3:4]
	v_mov_b32_e32 v4, v14
	v_mad_u64_u32 v[17:18], null, s2, v27, 0
	v_add_co_ci_u32_e32 v1, vcc_lo, v26, v1, vcc_lo
	v_mad_u64_u32 v[19:20], null, s3, v8, v[4:5]
	v_mov_b32_e32 v6, v16
	v_pack_b32_f16 v23, v124, v190
	v_add_nc_u32_e32 v8, 0x226, v22
	v_mov_b32_e32 v4, v18
	v_add_co_u32 v2, vcc_lo, v24, v2
	v_mad_u64_u32 v[20:21], null, s3, v21, v[6:7]
	v_mov_b32_e32 v14, v19
	global_store_dword v[0:1], v23, off
	v_add_co_ci_u32_e32 v3, vcc_lo, v26, v3, vcc_lo
	v_pack_b32_f16 v6, v189, v188
	v_lshlrev_b64 v[0:1], 2, v[13:14]
	v_mad_u64_u32 v[13:14], null, s2, v8, 0
	v_mov_b32_e32 v16, v20
	v_mad_u64_u32 v[18:19], null, s3, v27, v[4:5]
	global_store_dword v[2:3], v6, off
	v_add_co_u32 v0, vcc_lo, v24, v0
	v_lshlrev_b64 v[2:3], 2, v[15:16]
	v_mov_b32_e32 v6, v14
	v_pack_b32_f16 v16, v42, v5
	v_lshlrev_b64 v[4:5], 2, v[17:18]
	v_add_co_ci_u32_e32 v1, vcc_lo, v26, v1, vcc_lo
	v_add_co_u32 v2, vcc_lo, v24, v2
	v_mad_u64_u32 v[14:15], null, s3, v8, v[6:7]
	v_add_co_ci_u32_e32 v3, vcc_lo, v26, v3, vcc_lo
	v_add_co_u32 v4, vcc_lo, v24, v4
	v_pack_b32_f16 v6, v9, v7
	v_add_co_ci_u32_e32 v5, vcc_lo, v26, v5, vcc_lo
	v_pack_b32_f16 v7, v37, v10
	v_add_nc_u32_e32 v8, 0x258, v22
	v_add_nc_u32_e32 v10, 0x28a, v22
	global_store_dword v[0:1], v16, off
	global_store_dword v[2:3], v6, off
	v_lshlrev_b64 v[0:1], 2, v[13:14]
	v_add_nc_u32_e32 v13, 0x2bc, v22
	global_store_dword v[4:5], v7, off
	v_mad_u64_u32 v[2:3], null, s2, v8, 0
	v_mad_u64_u32 v[4:5], null, s2, v10, 0
	;; [unrolled: 1-line block ×3, first 2 shown]
	v_add_nc_u32_e32 v15, 0x2ee, v22
	v_pack_b32_f16 v14, v40, v11
	v_add_co_u32 v0, vcc_lo, v24, v0
	v_mad_u64_u32 v[8:9], null, s3, v8, v[3:4]
	v_mad_u64_u32 v[9:10], null, s3, v10, v[5:6]
	v_mov_b32_e32 v5, v7
	v_mad_u64_u32 v[10:11], null, s2, v15, 0
	v_add_co_ci_u32_e32 v1, vcc_lo, v26, v1, vcc_lo
	v_mov_b32_e32 v3, v8
	v_mad_u64_u32 v[7:8], null, s3, v13, v[5:6]
	v_add_nc_u32_e32 v13, 0x320, v22
	v_mov_b32_e32 v5, v9
	global_store_dword v[0:1], v14, off
	v_lshlrev_b64 v[0:1], 2, v[2:3]
	v_mov_b32_e32 v2, v11
	v_mad_u64_u32 v[8:9], null, s2, v13, 0
	v_lshlrev_b64 v[4:5], 2, v[4:5]
	v_pack_b32_f16 v14, v49, v12
	v_mad_u64_u32 v[2:3], null, s3, v15, v[2:3]
	v_add_co_u32 v0, vcc_lo, v24, v0
	v_mov_b32_e32 v3, v9
	v_add_co_ci_u32_e32 v1, vcc_lo, v26, v1, vcc_lo
	v_lshlrev_b64 v[6:7], 2, v[6:7]
	v_mov_b32_e32 v11, v2
	v_mad_u64_u32 v[12:13], null, s3, v13, v[3:4]
	v_add_co_u32 v2, vcc_lo, v24, v4
	v_add_co_ci_u32_e32 v3, vcc_lo, v26, v5, vcc_lo
	v_lshlrev_b64 v[4:5], 2, v[10:11]
	v_add_co_u32 v6, vcc_lo, v24, v6
	v_mov_b32_e32 v9, v12
	v_add_co_ci_u32_e32 v7, vcc_lo, v26, v7, vcc_lo
	v_add_co_u32 v4, vcc_lo, v24, v4
	v_lshlrev_b64 v[8:9], 2, v[8:9]
	v_pack_b32_f16 v13, v56, v61
	v_add_co_ci_u32_e32 v5, vcc_lo, v26, v5, vcc_lo
	v_pack_b32_f16 v10, v58, v57
	v_pack_b32_f16 v11, v30, v29
	v_add_co_u32 v8, vcc_lo, v24, v8
	v_add_co_ci_u32_e32 v9, vcc_lo, v26, v9, vcc_lo
	v_pack_b32_f16 v12, v25, v31
	global_store_dword v[0:1], v14, off
	global_store_dword v[2:3], v13, off
	;; [unrolled: 1-line block ×5, first 2 shown]
.LBB0_17:
	s_endpgm
	.section	.rodata,"a",@progbits
	.p2align	6, 0x0
	.amdhsa_kernel fft_rtc_fwd_len850_factors_10_5_17_wgs_85_tpt_85_half_op_CI_CI_sbrr_dirReg
		.amdhsa_group_segment_fixed_size 0
		.amdhsa_private_segment_fixed_size 8
		.amdhsa_kernarg_size 104
		.amdhsa_user_sgpr_count 6
		.amdhsa_user_sgpr_private_segment_buffer 1
		.amdhsa_user_sgpr_dispatch_ptr 0
		.amdhsa_user_sgpr_queue_ptr 0
		.amdhsa_user_sgpr_kernarg_segment_ptr 1
		.amdhsa_user_sgpr_dispatch_id 0
		.amdhsa_user_sgpr_flat_scratch_init 0
		.amdhsa_user_sgpr_private_segment_size 0
		.amdhsa_wavefront_size32 1
		.amdhsa_uses_dynamic_stack 0
		.amdhsa_system_sgpr_private_segment_wavefront_offset 1
		.amdhsa_system_sgpr_workgroup_id_x 1
		.amdhsa_system_sgpr_workgroup_id_y 0
		.amdhsa_system_sgpr_workgroup_id_z 0
		.amdhsa_system_sgpr_workgroup_info 0
		.amdhsa_system_vgpr_workitem_id 0
		.amdhsa_next_free_vgpr 256
		.amdhsa_next_free_sgpr 40
		.amdhsa_reserve_vcc 1
		.amdhsa_reserve_flat_scratch 0
		.amdhsa_float_round_mode_32 0
		.amdhsa_float_round_mode_16_64 0
		.amdhsa_float_denorm_mode_32 3
		.amdhsa_float_denorm_mode_16_64 3
		.amdhsa_dx10_clamp 1
		.amdhsa_ieee_mode 1
		.amdhsa_fp16_overflow 0
		.amdhsa_workgroup_processor_mode 1
		.amdhsa_memory_ordered 1
		.amdhsa_forward_progress 0
		.amdhsa_shared_vgpr_count 0
		.amdhsa_exception_fp_ieee_invalid_op 0
		.amdhsa_exception_fp_denorm_src 0
		.amdhsa_exception_fp_ieee_div_zero 0
		.amdhsa_exception_fp_ieee_overflow 0
		.amdhsa_exception_fp_ieee_underflow 0
		.amdhsa_exception_fp_ieee_inexact 0
		.amdhsa_exception_int_div_zero 0
	.end_amdhsa_kernel
	.text
.Lfunc_end0:
	.size	fft_rtc_fwd_len850_factors_10_5_17_wgs_85_tpt_85_half_op_CI_CI_sbrr_dirReg, .Lfunc_end0-fft_rtc_fwd_len850_factors_10_5_17_wgs_85_tpt_85_half_op_CI_CI_sbrr_dirReg
                                        ; -- End function
	.section	.AMDGPU.csdata,"",@progbits
; Kernel info:
; codeLenInByte = 11324
; NumSgprs: 42
; NumVgprs: 256
; ScratchSize: 8
; MemoryBound: 0
; FloatMode: 240
; IeeeMode: 1
; LDSByteSize: 0 bytes/workgroup (compile time only)
; SGPRBlocks: 5
; VGPRBlocks: 31
; NumSGPRsForWavesPerEU: 42
; NumVGPRsForWavesPerEU: 256
; Occupancy: 4
; WaveLimiterHint : 1
; COMPUTE_PGM_RSRC2:SCRATCH_EN: 1
; COMPUTE_PGM_RSRC2:USER_SGPR: 6
; COMPUTE_PGM_RSRC2:TRAP_HANDLER: 0
; COMPUTE_PGM_RSRC2:TGID_X_EN: 1
; COMPUTE_PGM_RSRC2:TGID_Y_EN: 0
; COMPUTE_PGM_RSRC2:TGID_Z_EN: 0
; COMPUTE_PGM_RSRC2:TIDIG_COMP_CNT: 0
	.text
	.p2alignl 6, 3214868480
	.fill 48, 4, 3214868480
	.type	__hip_cuid_d1748a6bb2dbc1dc,@object ; @__hip_cuid_d1748a6bb2dbc1dc
	.section	.bss,"aw",@nobits
	.globl	__hip_cuid_d1748a6bb2dbc1dc
__hip_cuid_d1748a6bb2dbc1dc:
	.byte	0                               ; 0x0
	.size	__hip_cuid_d1748a6bb2dbc1dc, 1

	.ident	"AMD clang version 19.0.0git (https://github.com/RadeonOpenCompute/llvm-project roc-6.4.0 25133 c7fe45cf4b819c5991fe208aaa96edf142730f1d)"
	.section	".note.GNU-stack","",@progbits
	.addrsig
	.addrsig_sym __hip_cuid_d1748a6bb2dbc1dc
	.amdgpu_metadata
---
amdhsa.kernels:
  - .args:
      - .actual_access:  read_only
        .address_space:  global
        .offset:         0
        .size:           8
        .value_kind:     global_buffer
      - .offset:         8
        .size:           8
        .value_kind:     by_value
      - .actual_access:  read_only
        .address_space:  global
        .offset:         16
        .size:           8
        .value_kind:     global_buffer
      - .actual_access:  read_only
        .address_space:  global
        .offset:         24
        .size:           8
        .value_kind:     global_buffer
      - .actual_access:  read_only
        .address_space:  global
        .offset:         32
        .size:           8
        .value_kind:     global_buffer
      - .offset:         40
        .size:           8
        .value_kind:     by_value
      - .actual_access:  read_only
        .address_space:  global
        .offset:         48
        .size:           8
        .value_kind:     global_buffer
      - .actual_access:  read_only
        .address_space:  global
        .offset:         56
        .size:           8
        .value_kind:     global_buffer
      - .offset:         64
        .size:           4
        .value_kind:     by_value
      - .actual_access:  read_only
        .address_space:  global
        .offset:         72
        .size:           8
        .value_kind:     global_buffer
      - .actual_access:  read_only
        .address_space:  global
        .offset:         80
        .size:           8
        .value_kind:     global_buffer
      - .actual_access:  read_only
        .address_space:  global
        .offset:         88
        .size:           8
        .value_kind:     global_buffer
      - .actual_access:  write_only
        .address_space:  global
        .offset:         96
        .size:           8
        .value_kind:     global_buffer
    .group_segment_fixed_size: 0
    .kernarg_segment_align: 8
    .kernarg_segment_size: 104
    .language:       OpenCL C
    .language_version:
      - 2
      - 0
    .max_flat_workgroup_size: 85
    .name:           fft_rtc_fwd_len850_factors_10_5_17_wgs_85_tpt_85_half_op_CI_CI_sbrr_dirReg
    .private_segment_fixed_size: 8
    .sgpr_count:     42
    .sgpr_spill_count: 0
    .symbol:         fft_rtc_fwd_len850_factors_10_5_17_wgs_85_tpt_85_half_op_CI_CI_sbrr_dirReg.kd
    .uniform_work_group_size: 1
    .uses_dynamic_stack: false
    .vgpr_count:     256
    .vgpr_spill_count: 1
    .wavefront_size: 32
    .workgroup_processor_mode: 1
amdhsa.target:   amdgcn-amd-amdhsa--gfx1030
amdhsa.version:
  - 1
  - 2
...

	.end_amdgpu_metadata
